;; amdgpu-corpus repo=zjin-lcf/HeCBench kind=compiled arch=gfx1100 opt=O3
	.text
	.amdgcn_target "amdgcn-amd-amdhsa--gfx1100"
	.amdhsa_code_object_version 6
	.protected	_Z18sequence_aa_kernelbPKcS0_PKjS2_PsS3_S3_S3_S3_ssPKsS5_ ; -- Begin function _Z18sequence_aa_kernelbPKcS0_PKjS2_PsS3_S3_S3_S3_ssPKsS5_
	.globl	_Z18sequence_aa_kernelbPKcS0_PKjS2_PsS3_S3_S3_S3_ssPKsS5_
	.p2align	8
	.type	_Z18sequence_aa_kernelbPKcS0_PKjS2_PsS3_S3_S3_S3_ssPKsS5_,@function
_Z18sequence_aa_kernelbPKcS0_PKjS2_PsS3_S3_S3_S3_ssPKsS5_: ; @_Z18sequence_aa_kernelbPKcS0_PKjS2_PsS3_S3_S3_S3_ssPKsS5_
; %bb.0:
	s_load_b256 s[4:11], s[0:1], 0x8
	s_mov_b32 s12, s15
	s_cmp_lg_u32 s15, 0
	s_mov_b32 s2, 0
	s_cbranch_scc0 .LBB0_71
; %bb.1:
	s_ashr_i32 s13, s12, 31
	s_delay_alu instid0(SALU_CYCLE_1)
	s_lshl_b64 s[14:15], s[12:13], 2
	s_waitcnt lgkmcnt(0)
	s_add_u32 s3, s8, s14
	s_addc_u32 s13, s9, s15
	s_add_u32 s16, s3, -4
	s_addc_u32 s17, s13, -1
	s_load_b64 s[16:17], s[16:17], 0x0
	s_waitcnt lgkmcnt(0)
	s_sub_i32 s28, s17, s16
	s_add_u32 s3, s10, s14
	s_addc_u32 s13, s11, s15
	s_add_u32 s14, s3, -4
	s_addc_u32 s15, s13, -1
	s_load_b64 s[14:15], s[14:15], 0x0
	s_waitcnt lgkmcnt(0)
	s_sub_i32 s29, s15, s14
	s_add_u32 s24, s4, s16
	s_addc_u32 s25, s5, 0
	s_add_u32 s22, s6, s14
	s_addc_u32 s23, s7, 0
	s_clause 0x1
	s_load_b64 s[16:17], s[0:1], 0x30
	s_load_b64 s[18:19], s[0:1], 0x40
	s_and_not1_b32 vcc_lo, exec_lo, s2
	s_cbranch_vccnz .LBB0_3
.LBB0_2:
	s_waitcnt lgkmcnt(0)
	s_load_b32 s28, s[8:9], 0x0
	s_load_b32 s29, s[10:11], 0x0
	s_mov_b64 s[22:23], s[6:7]
	s_mov_b64 s[24:25], s[4:5]
.LBB0_3:
	s_load_b32 s2, s[0:1], 0x0
	s_waitcnt lgkmcnt(0)
	s_bitcmp1_b32 s2, 0
	s_cselect_b32 s2, -1, 0
	s_delay_alu instid0(SALU_CYCLE_1) | instskip(NEXT) | instid1(SALU_CYCLE_1)
	s_xor_b32 s26, s2, -1
	s_and_b32 vcc_lo, exec_lo, s26
	s_cbranch_vccnz .LBB0_5
; %bb.4:
	s_ashr_i32 s13, s12, 31
	v_mov_b32_e32 v1, 0
	s_lshl_b64 s[4:5], s[12:13], 1
	s_delay_alu instid0(SALU_CYCLE_1)
	s_add_u32 s6, s18, s4
	s_addc_u32 s7, s19, s5
	s_add_u32 s4, s16, s4
	s_addc_u32 s5, s17, s5
	s_clause 0x1
	global_load_i16 v2, v1, s[4:5]
	global_load_i16 v1, v1, s[6:7]
	s_waitcnt vmcnt(1)
	v_readfirstlane_b32 s28, v2
	s_waitcnt vmcnt(0)
	v_readfirstlane_b32 s29, v1
.LBB0_5:
	s_clause 0x3
	s_load_b128 s[8:11], s[0:1], 0x58
	s_load_b64 s[6:7], s[0:1], 0x28
	s_load_b64 s[20:21], s[0:1], 0x48
	;; [unrolled: 1-line block ×3, first 2 shown]
	s_min_u32 s13, s28, s29
	s_delay_alu instid0(SALU_CYCLE_1) | instskip(NEXT) | instid1(VALU_DEP_1)
	v_cmp_gt_u32_e64 s3, s13, v0
	s_and_saveexec_b32 s4, s3
	s_cbranch_execz .LBB0_8
; %bb.6:
	v_dual_mov_b32 v1, 0 :: v_dual_mov_b32 v2, v0
	s_mov_b32 s5, 0
.LBB0_7:                                ; =>This Inner Loop Header: Depth=1
	s_delay_alu instid0(VALU_DEP_1) | instskip(SKIP_4) | instid1(SALU_CYCLE_1)
	v_add_nc_u32_e32 v3, 0x1ec0, v2
	v_add_nc_u32_e32 v2, 32, v2
	ds_store_b8 v3, v1
	v_cmp_le_u32_e32 vcc_lo, s13, v2
	s_or_b32 s5, vcc_lo, s5
	s_and_not1_b32 exec_lo, exec_lo, s5
	s_cbranch_execnz .LBB0_7
.LBB0_8:
	s_or_b32 exec_lo, exec_lo, s4
	s_add_i32 s30, s13, 0x1ec0
	s_and_saveexec_b32 s4, s3
	s_cbranch_execz .LBB0_11
; %bb.9:
	v_dual_mov_b32 v1, 1 :: v_dual_mov_b32 v2, v0
	s_mov_b32 s5, 0
.LBB0_10:                               ; =>This Inner Loop Header: Depth=1
	s_delay_alu instid0(VALU_DEP_1) | instskip(SKIP_4) | instid1(SALU_CYCLE_1)
	v_add_nc_u32_e32 v3, s30, v2
	v_add_nc_u32_e32 v2, 32, v2
	ds_store_b8 v3, v1
	v_cmp_le_u32_e32 vcc_lo, s13, v2
	s_or_b32 s5, vcc_lo, s5
	s_and_not1_b32 exec_lo, exec_lo, s5
	s_cbranch_execnz .LBB0_10
.LBB0_11:
	s_or_b32 exec_lo, exec_lo, s4
	s_add_i32 s30, s30, s13
	s_and_saveexec_b32 s4, s3
	s_cbranch_execz .LBB0_14
; %bb.12:
	v_dual_mov_b32 v1, 0 :: v_dual_mov_b32 v2, v0
	s_mov_b32 s5, 0
.LBB0_13:                               ; =>This Inner Loop Header: Depth=1
	s_delay_alu instid0(VALU_DEP_1) | instskip(SKIP_4) | instid1(SALU_CYCLE_1)
	v_add_nc_u32_e32 v3, s30, v2
	v_add_nc_u32_e32 v2, 32, v2
	ds_store_b8 v3, v1
	v_cmp_le_u32_e32 vcc_lo, s13, v2
	s_or_b32 s5, vcc_lo, s5
	s_and_not1_b32 exec_lo, exec_lo, s5
	s_cbranch_execnz .LBB0_13
.LBB0_14:
	s_or_b32 exec_lo, exec_lo, s4
	s_cmp_ge_u32 s28, s29
	s_cselect_b32 s27, -1, 0
	s_delay_alu instid0(SALU_CYCLE_1)
	s_and_b32 vcc_lo, exec_lo, s27
	s_cbranch_vccz .LBB0_17
; %bb.15:
	v_cmp_gt_u32_e32 vcc_lo, s29, v0
	s_mov_b64 s[4:5], s[22:23]
	s_and_b32 s31, vcc_lo, exec_lo
	s_cbranch_execz .LBB0_18
; %bb.16:
	s_mov_b64 s[22:23], s[24:25]
	s_mov_b64 s[24:25], s[4:5]
	s_mov_b32 s4, s29
                                        ; implicit-def: $vgpr6
	s_and_saveexec_b32 s5, s31
	s_cbranch_execnz .LBB0_19
	s_branch .LBB0_20
.LBB0_17:
	s_mov_b32 s31, 0
                                        ; implicit-def: $sgpr4_sgpr5
.LBB0_18:
	v_cmp_gt_u32_e32 vcc_lo, s28, v0
	s_and_not1_b32 s4, s31, exec_lo
	s_and_b32 s5, vcc_lo, exec_lo
	s_delay_alu instid0(SALU_CYCLE_1)
	s_or_b32 s31, s4, s5
	s_mov_b32 s4, s28
                                        ; implicit-def: $vgpr6
	s_and_saveexec_b32 s5, s31
	s_cbranch_execz .LBB0_20
.LBB0_19:
	v_xad_u32 v1, v0, -1, s4
	s_delay_alu instid0(VALU_DEP_1)
	v_cndmask_b32_e64 v1, v0, v1, s2
	global_load_u8 v6, v1, s[24:25]
.LBB0_20:
	s_or_b32 exec_lo, exec_lo, s5
	s_waitcnt vmcnt(0) lgkmcnt(0)
	s_barrier
	buffer_gl0_inv
	s_load_b32 s4, s[0:1], 0x74
	s_mov_b32 s24, exec_lo
	s_waitcnt lgkmcnt(0)
	s_and_b32 s5, s4, 0xffff
	v_cmpx_gt_u32_e32 0x240, v0
	s_cbranch_execz .LBB0_33
; %bb.21:
	v_cvt_f32_u32_e32 v1, s5
	s_sub_i32 s4, 0, s5
	v_add_nc_u32_e32 v3, s5, v0
	s_cmp_eq_u32 s5, 1
	s_cselect_b32 s25, -1, 0
	v_rcp_iflag_f32_e32 v1, v1
	s_delay_alu instid0(VALU_DEP_1) | instskip(SKIP_3) | instid1(VALU_DEP_1)
	v_cmp_gt_u32_e32 vcc_lo, 0x240, v3
	v_max_u32_e32 v4, 0x240, v3
	s_waitcnt_depctr 0xfff
	v_mul_f32_e32 v1, 0x4f7ffffe, v1
	v_cvt_u32_f32_e32 v1, v1
	s_delay_alu instid0(VALU_DEP_1) | instskip(SKIP_1) | instid1(VALU_DEP_1)
	v_mul_lo_u32 v2, s4, v1
	v_add_co_ci_u32_e64 v3, s4, s5, v0, vcc_lo
	v_sub_nc_u32_e32 v3, v4, v3
	s_delay_alu instid0(VALU_DEP_3) | instskip(NEXT) | instid1(VALU_DEP_1)
	v_mul_hi_u32 v2, v1, v2
	v_add_nc_u32_e32 v1, v1, v2
	s_delay_alu instid0(VALU_DEP_1) | instskip(NEXT) | instid1(VALU_DEP_1)
	v_mul_hi_u32 v1, v3, v1
	v_mul_lo_u32 v2, v1, s5
	s_delay_alu instid0(VALU_DEP_1) | instskip(SKIP_1) | instid1(VALU_DEP_2)
	v_sub_nc_u32_e32 v2, v3, v2
	v_add_nc_u32_e32 v3, 1, v1
	v_subrev_nc_u32_e32 v4, s5, v2
	v_cmp_le_u32_e64 s4, s5, v2
	s_delay_alu instid0(VALU_DEP_1) | instskip(NEXT) | instid1(VALU_DEP_3)
	v_cndmask_b32_e64 v1, v1, v3, s4
	v_cndmask_b32_e64 v2, v2, v4, s4
	s_delay_alu instid0(VALU_DEP_2) | instskip(NEXT) | instid1(VALU_DEP_2)
	v_add_nc_u32_e32 v3, 1, v1
	v_cmp_le_u32_e64 s4, s5, v2
	s_delay_alu instid0(VALU_DEP_1) | instskip(SKIP_1) | instid1(VALU_DEP_2)
	v_cndmask_b32_e64 v2, v1, v3, s4
	v_mov_b32_e32 v1, v0
	v_add_co_ci_u32_e64 v3, s4, 1, v2, vcc_lo
	s_delay_alu instid0(VALU_DEP_1) | instskip(NEXT) | instid1(VALU_DEP_1)
	v_cmp_lt_u32_e64 s4, 1, v3
	s_and_b32 s31, s4, s25
	s_mov_b32 s25, -1
	s_and_saveexec_b32 s4, s31
	s_cbranch_execz .LBB0_30
; %bb.22:
	v_add_co_ci_u32_e32 v1, vcc_lo, 0, v2, vcc_lo
	s_mov_b32 s25, exec_lo
	s_delay_alu instid0(VALU_DEP_1) | instskip(NEXT) | instid1(VALU_DEP_1)
	v_dual_mov_b32 v8, 0 :: v_dual_add_nc_u32 v1, -1, v1
	v_lshrrev_b32_e32 v2, 1, v1
	s_delay_alu instid0(VALU_DEP_1)
	v_add_nc_u32_e32 v4, 1, v2
	v_cmpx_lt_u32_e32 13, v1
	s_cbranch_execz .LBB0_26
; %bb.23:
	s_delay_alu instid0(VALU_DEP_2)
	v_dual_mov_b32 v2, 0 :: v_dual_and_b32 v5, -8, v4
	v_lshl_or_b32 v7, v0, 1, 0x1800
	v_mov_b32_e32 v1, v0
	s_mov_b32 s31, 0
	s_mov_b32 s33, 0
.LBB0_24:                               ; =>This Inner Loop Header: Depth=1
	s_delay_alu instid0(VALU_DEP_1) | instskip(SKIP_3) | instid1(VALU_DEP_4)
	v_dual_mov_b32 v11, v2 :: v_dual_add_nc_u32 v10, 2, v1
	v_lshlrev_b64 v[8:9], 1, v[1:2]
	v_dual_mov_b32 v13, v2 :: v_dual_add_nc_u32 v12, 4, v1
	v_dual_mov_b32 v15, v2 :: v_dual_add_nc_u32 v14, 6, v1
	v_lshlrev_b64 v[10:11], 1, v[10:11]
	s_delay_alu instid0(VALU_DEP_4) | instskip(NEXT) | instid1(VALU_DEP_4)
	v_add_co_u32 v8, vcc_lo, s8, v8
	v_lshlrev_b64 v[12:13], 1, v[12:13]
	v_dual_mov_b32 v17, v2 :: v_dual_add_nc_u32 v16, 8, v1
	v_add_co_ci_u32_e32 v9, vcc_lo, s9, v9, vcc_lo
	v_lshlrev_b64 v[14:15], 1, v[14:15]
	v_add_co_u32 v10, vcc_lo, s8, v10
	v_dual_mov_b32 v19, v2 :: v_dual_add_nc_u32 v18, 10, v1
	v_add_co_ci_u32_e32 v11, vcc_lo, s9, v11, vcc_lo
	v_lshlrev_b64 v[16:17], 1, v[16:17]
	v_add_co_u32 v12, vcc_lo, s8, v12
	;; [unrolled: 4-line block ×4, first 2 shown]
	v_add_co_ci_u32_e32 v17, vcc_lo, s9, v17, vcc_lo
	v_lshlrev_b64 v[22:23], 1, v[22:23]
	v_add_co_u32 v18, vcc_lo, s8, v18
	v_add_co_ci_u32_e32 v19, vcc_lo, s9, v19, vcc_lo
	v_add_co_u32 v20, vcc_lo, s8, v20
	v_add_co_ci_u32_e32 v21, vcc_lo, s9, v21, vcc_lo
	;; [unrolled: 2-line block ×3, first 2 shown]
	s_clause 0x7
	global_load_b32 v9, v[8:9], off
	global_load_b32 v10, v[10:11], off
	;; [unrolled: 1-line block ×8, first 2 shown]
	s_add_i32 s33, s33, 16
	s_delay_alu instid0(SALU_CYCLE_1)
	v_dual_mov_b32 v8, s33 :: v_dual_add_nc_u32 v5, -8, v5
	v_add_nc_u32_e32 v1, 16, v1
	s_waitcnt vmcnt(4)
	ds_store_b128 v7, v[9:12]
	s_waitcnt vmcnt(1)
	ds_store_b96 v7, v[13:15] offset:16
	s_waitcnt vmcnt(0)
	ds_store_b32 v7, v16 offset:28
	v_cmp_eq_u32_e32 vcc_lo, 0, v5
	v_add_nc_u32_e32 v7, 32, v7
	s_or_b32 s31, vcc_lo, s31
	s_delay_alu instid0(SALU_CYCLE_1)
	s_and_not1_b32 exec_lo, exec_lo, s31
	s_cbranch_execnz .LBB0_24
; %bb.25:
	s_or_b32 exec_lo, exec_lo, s31
.LBB0_26:
	s_delay_alu instid0(SALU_CYCLE_1) | instskip(NEXT) | instid1(VALU_DEP_2)
	s_or_b32 exec_lo, exec_lo, s25
	v_and_b32_e32 v4, 7, v4
	s_mov_b32 s31, 0
	s_mov_b32 s25, exec_lo
	s_delay_alu instid0(VALU_DEP_1)
	v_cmpx_ne_u32_e32 0, v4
	s_cbranch_execz .LBB0_29
; %bb.27:
	v_dual_mov_b32 v2, 0 :: v_dual_add_nc_u32 v1, v0, v8
	s_delay_alu instid0(VALU_DEP_1)
	v_lshl_add_u32 v5, v1, 1, 0x1800
.LBB0_28:                               ; =>This Inner Loop Header: Depth=1
	s_delay_alu instid0(VALU_DEP_2) | instskip(SKIP_2) | instid1(VALU_DEP_3)
	v_lshlrev_b64 v[7:8], 1, v[1:2]
	v_add_nc_u32_e32 v4, -1, v4
	v_add_nc_u32_e32 v1, 2, v1
	v_add_co_u32 v7, vcc_lo, s8, v7
	s_delay_alu instid0(VALU_DEP_4) | instskip(NEXT) | instid1(VALU_DEP_4)
	v_add_co_ci_u32_e32 v8, vcc_lo, s9, v8, vcc_lo
	v_cmp_eq_u32_e32 vcc_lo, 0, v4
	global_load_b32 v7, v[7:8], off
	s_or_b32 s31, vcc_lo, s31
	s_waitcnt vmcnt(0)
	ds_store_b32 v5, v7
	v_add_nc_u32_e32 v5, 4, v5
	s_and_not1_b32 exec_lo, exec_lo, s31
	s_cbranch_execnz .LBB0_28
.LBB0_29:
	s_or_b32 exec_lo, exec_lo, s25
	v_and_b32_e32 v1, -2, v3
	s_delay_alu instid0(VALU_DEP_1)
	v_cmp_ne_u32_e32 vcc_lo, v3, v1
	v_add_nc_u32_e32 v1, v0, v1
	s_or_not1_b32 s25, vcc_lo, exec_lo
.LBB0_30:
	s_or_b32 exec_lo, exec_lo, s4
	s_delay_alu instid0(SALU_CYCLE_1)
	s_and_b32 exec_lo, exec_lo, s25
	s_cbranch_execz .LBB0_33
; %bb.31:
	v_mov_b32_e32 v2, 0
	v_lshl_add_u32 v4, v1, 1, 0x1800
	s_delay_alu instid0(VALU_DEP_2) | instskip(NEXT) | instid1(VALU_DEP_1)
	v_lshlrev_b64 v[2:3], 1, v[1:2]
	v_add_co_u32 v2, vcc_lo, s8, v2
	s_delay_alu instid0(VALU_DEP_2)
	v_add_co_ci_u32_e32 v3, vcc_lo, s9, v3, vcc_lo
	s_mov_b32 s8, 0
	s_lshl_b32 s9, s5, 1
.LBB0_32:                               ; =>This Inner Loop Header: Depth=1
	global_load_u16 v5, v[2:3], off
	v_add_nc_u32_e32 v1, s5, v1
	v_add_co_u32 v2, vcc_lo, v2, s9
	v_add_co_ci_u32_e32 v3, vcc_lo, 0, v3, vcc_lo
	s_delay_alu instid0(VALU_DEP_3) | instskip(NEXT) | instid1(VALU_DEP_1)
	v_cmp_lt_u32_e64 s4, 0x23f, v1
	s_or_b32 s8, s4, s8
	s_waitcnt vmcnt(0)
	ds_store_b16 v4, v5
	v_add_nc_u32_e32 v4, s9, v4
	s_and_not1_b32 exec_lo, exec_lo, s8
	s_cbranch_execnz .LBB0_32
.LBB0_33:
	s_or_b32 exec_lo, exec_lo, s24
	s_delay_alu instid0(SALU_CYCLE_1)
	s_mov_b32 s8, exec_lo
	v_cmpx_gt_u32_e32 0x5b, v0
	s_cbranch_execz .LBB0_46
; %bb.34:
	v_cvt_f32_u32_e32 v1, s5
	s_sub_i32 s4, 0, s5
	v_add_nc_u32_e32 v3, s5, v0
	s_cmp_eq_u32 s5, 1
	s_cselect_b32 s9, -1, 0
	v_rcp_iflag_f32_e32 v1, v1
	s_delay_alu instid0(VALU_DEP_1) | instskip(SKIP_3) | instid1(VALU_DEP_1)
	v_cmp_gt_u32_e32 vcc_lo, 0x5b, v3
	v_max_u32_e32 v4, 0x5b, v3
	s_waitcnt_depctr 0xfff
	v_mul_f32_e32 v1, 0x4f7ffffe, v1
	v_cvt_u32_f32_e32 v1, v1
	s_delay_alu instid0(VALU_DEP_1) | instskip(SKIP_1) | instid1(VALU_DEP_1)
	v_mul_lo_u32 v2, s4, v1
	v_add_co_ci_u32_e64 v3, s4, s5, v0, vcc_lo
	v_sub_nc_u32_e32 v3, v4, v3
	s_delay_alu instid0(VALU_DEP_3) | instskip(NEXT) | instid1(VALU_DEP_1)
	v_mul_hi_u32 v2, v1, v2
	v_add_nc_u32_e32 v1, v1, v2
	s_delay_alu instid0(VALU_DEP_1) | instskip(NEXT) | instid1(VALU_DEP_1)
	v_mul_hi_u32 v1, v3, v1
	v_mul_lo_u32 v2, v1, s5
	s_delay_alu instid0(VALU_DEP_1) | instskip(SKIP_1) | instid1(VALU_DEP_2)
	v_sub_nc_u32_e32 v2, v3, v2
	v_add_nc_u32_e32 v3, 1, v1
	v_subrev_nc_u32_e32 v4, s5, v2
	v_cmp_le_u32_e64 s4, s5, v2
	s_delay_alu instid0(VALU_DEP_1) | instskip(NEXT) | instid1(VALU_DEP_3)
	v_cndmask_b32_e64 v1, v1, v3, s4
	v_cndmask_b32_e64 v2, v2, v4, s4
	s_delay_alu instid0(VALU_DEP_2) | instskip(NEXT) | instid1(VALU_DEP_2)
	v_add_nc_u32_e32 v3, 1, v1
	v_cmp_le_u32_e64 s4, s5, v2
	s_delay_alu instid0(VALU_DEP_1) | instskip(SKIP_1) | instid1(VALU_DEP_2)
	v_cndmask_b32_e64 v2, v1, v3, s4
	v_mov_b32_e32 v1, v0
	v_add_co_ci_u32_e64 v3, s4, 1, v2, vcc_lo
	s_delay_alu instid0(VALU_DEP_1) | instskip(NEXT) | instid1(VALU_DEP_1)
	v_cmp_lt_u32_e64 s4, 1, v3
	s_and_b32 s24, s4, s9
	s_mov_b32 s9, -1
	s_and_saveexec_b32 s4, s24
	s_cbranch_execz .LBB0_43
; %bb.35:
	v_add_co_ci_u32_e32 v1, vcc_lo, 0, v2, vcc_lo
	s_mov_b32 s9, exec_lo
	s_delay_alu instid0(VALU_DEP_1) | instskip(NEXT) | instid1(VALU_DEP_1)
	v_dual_mov_b32 v8, 0 :: v_dual_add_nc_u32 v1, -1, v1
	v_lshrrev_b32_e32 v2, 1, v1
	s_delay_alu instid0(VALU_DEP_1)
	v_add_nc_u32_e32 v4, 1, v2
	v_cmpx_lt_u32_e32 13, v1
	s_cbranch_execz .LBB0_39
; %bb.36:
	s_delay_alu instid0(VALU_DEP_2)
	v_dual_mov_b32 v2, 0 :: v_dual_and_b32 v5, -8, v4
	v_lshl_add_u32 v7, v0, 1, 0x1c80
	v_mov_b32_e32 v1, v0
	s_mov_b32 s24, 0
	s_mov_b32 s25, 0
.LBB0_37:                               ; =>This Inner Loop Header: Depth=1
	s_delay_alu instid0(VALU_DEP_1) | instskip(SKIP_3) | instid1(VALU_DEP_4)
	v_dual_mov_b32 v11, v2 :: v_dual_add_nc_u32 v10, 2, v1
	v_lshlrev_b64 v[8:9], 1, v[1:2]
	v_dual_mov_b32 v13, v2 :: v_dual_add_nc_u32 v12, 4, v1
	v_dual_mov_b32 v15, v2 :: v_dual_add_nc_u32 v14, 6, v1
	v_lshlrev_b64 v[10:11], 1, v[10:11]
	s_delay_alu instid0(VALU_DEP_4) | instskip(NEXT) | instid1(VALU_DEP_4)
	v_add_co_u32 v8, vcc_lo, s10, v8
	v_lshlrev_b64 v[12:13], 1, v[12:13]
	v_dual_mov_b32 v17, v2 :: v_dual_add_nc_u32 v16, 8, v1
	v_add_co_ci_u32_e32 v9, vcc_lo, s11, v9, vcc_lo
	v_lshlrev_b64 v[14:15], 1, v[14:15]
	v_add_co_u32 v10, vcc_lo, s10, v10
	v_dual_mov_b32 v19, v2 :: v_dual_add_nc_u32 v18, 10, v1
	v_add_co_ci_u32_e32 v11, vcc_lo, s11, v11, vcc_lo
	v_lshlrev_b64 v[16:17], 1, v[16:17]
	v_add_co_u32 v12, vcc_lo, s10, v12
	;; [unrolled: 4-line block ×4, first 2 shown]
	v_add_co_ci_u32_e32 v17, vcc_lo, s11, v17, vcc_lo
	v_lshlrev_b64 v[22:23], 1, v[22:23]
	v_add_co_u32 v18, vcc_lo, s10, v18
	v_add_co_ci_u32_e32 v19, vcc_lo, s11, v19, vcc_lo
	v_add_co_u32 v20, vcc_lo, s10, v20
	v_add_co_ci_u32_e32 v21, vcc_lo, s11, v21, vcc_lo
	;; [unrolled: 2-line block ×3, first 2 shown]
	s_clause 0x7
	global_load_b32 v9, v[8:9], off
	global_load_b32 v10, v[10:11], off
	global_load_b32 v11, v[12:13], off
	global_load_b32 v12, v[14:15], off
	global_load_b32 v13, v[16:17], off
	global_load_b32 v14, v[18:19], off
	global_load_b32 v15, v[20:21], off
	global_load_b32 v16, v[22:23], off
	s_add_i32 s25, s25, 16
	s_delay_alu instid0(SALU_CYCLE_1)
	v_dual_mov_b32 v8, s25 :: v_dual_add_nc_u32 v5, -8, v5
	v_add_nc_u32_e32 v1, 16, v1
	s_waitcnt vmcnt(4)
	ds_store_b128 v7, v[9:12]
	s_waitcnt vmcnt(1)
	ds_store_b96 v7, v[13:15] offset:16
	s_waitcnt vmcnt(0)
	ds_store_b32 v7, v16 offset:28
	v_cmp_eq_u32_e32 vcc_lo, 0, v5
	v_add_nc_u32_e32 v7, 32, v7
	s_or_b32 s24, vcc_lo, s24
	s_delay_alu instid0(SALU_CYCLE_1)
	s_and_not1_b32 exec_lo, exec_lo, s24
	s_cbranch_execnz .LBB0_37
; %bb.38:
	s_or_b32 exec_lo, exec_lo, s24
.LBB0_39:
	s_delay_alu instid0(SALU_CYCLE_1) | instskip(NEXT) | instid1(VALU_DEP_2)
	s_or_b32 exec_lo, exec_lo, s9
	v_and_b32_e32 v4, 7, v4
	s_mov_b32 s24, 0
	s_mov_b32 s9, exec_lo
	s_delay_alu instid0(VALU_DEP_1)
	v_cmpx_ne_u32_e32 0, v4
	s_cbranch_execz .LBB0_42
; %bb.40:
	v_dual_mov_b32 v2, 0 :: v_dual_add_nc_u32 v1, v0, v8
	s_delay_alu instid0(VALU_DEP_1)
	v_lshl_add_u32 v5, v1, 1, 0x1c80
.LBB0_41:                               ; =>This Inner Loop Header: Depth=1
	s_delay_alu instid0(VALU_DEP_2) | instskip(SKIP_2) | instid1(VALU_DEP_3)
	v_lshlrev_b64 v[7:8], 1, v[1:2]
	v_add_nc_u32_e32 v4, -1, v4
	v_add_nc_u32_e32 v1, 2, v1
	v_add_co_u32 v7, vcc_lo, s10, v7
	s_delay_alu instid0(VALU_DEP_4) | instskip(NEXT) | instid1(VALU_DEP_4)
	v_add_co_ci_u32_e32 v8, vcc_lo, s11, v8, vcc_lo
	v_cmp_eq_u32_e32 vcc_lo, 0, v4
	global_load_b32 v7, v[7:8], off
	s_or_b32 s24, vcc_lo, s24
	s_waitcnt vmcnt(0)
	ds_store_b32 v5, v7
	v_add_nc_u32_e32 v5, 4, v5
	s_and_not1_b32 exec_lo, exec_lo, s24
	s_cbranch_execnz .LBB0_41
.LBB0_42:
	s_or_b32 exec_lo, exec_lo, s9
	v_and_b32_e32 v1, -2, v3
	s_delay_alu instid0(VALU_DEP_1)
	v_cmp_ne_u32_e32 vcc_lo, v3, v1
	v_add_nc_u32_e32 v1, v0, v1
	s_or_not1_b32 s9, vcc_lo, exec_lo
.LBB0_43:
	s_or_b32 exec_lo, exec_lo, s4
	s_delay_alu instid0(SALU_CYCLE_1)
	s_and_b32 exec_lo, exec_lo, s9
	s_cbranch_execz .LBB0_46
; %bb.44:
	v_mov_b32_e32 v2, 0
	v_lshl_add_u32 v4, v1, 1, 0x1c80
	s_mov_b32 s9, 0
	s_delay_alu instid0(VALU_DEP_2) | instskip(NEXT) | instid1(VALU_DEP_1)
	v_lshlrev_b64 v[2:3], 1, v[1:2]
	v_add_co_u32 v2, vcc_lo, s10, v2
	s_delay_alu instid0(VALU_DEP_2)
	v_add_co_ci_u32_e32 v3, vcc_lo, s11, v3, vcc_lo
	s_lshl_b32 s10, s5, 1
.LBB0_45:                               ; =>This Inner Loop Header: Depth=1
	global_load_u16 v5, v[2:3], off
	v_add_nc_u32_e32 v1, s5, v1
	v_add_co_u32 v2, vcc_lo, v2, s10
	v_add_co_ci_u32_e32 v3, vcc_lo, 0, v3, vcc_lo
	s_delay_alu instid0(VALU_DEP_3) | instskip(NEXT) | instid1(VALU_DEP_1)
	v_cmp_lt_u32_e64 s4, 0x5a, v1
	s_or_b32 s9, s4, s9
	s_waitcnt vmcnt(0)
	ds_store_b16 v4, v5
	v_add_nc_u32_e32 v4, s10, v4
	s_and_not1_b32 exec_lo, exec_lo, s9
	s_cbranch_execnz .LBB0_45
.LBB0_46:
	s_or_b32 exec_lo, exec_lo, s8
	v_lshrrev_b32_e32 v2, 5, v0
	v_and_b32_e32 v5, 31, v0
	v_mov_b32_e32 v1, 0
	v_lshlrev_b32_e32 v3, 1, v0
	v_cmp_eq_u32_e64 s4, 0, v0
	v_lshlrev_b32_e32 v4, 1, v2
	v_mov_b32_e32 v2, 0
	v_cmp_eq_u32_e32 vcc_lo, 0, v5
	v_mov_b32_e32 v7, 0
	s_add_i32 s24, s29, s28
	s_mov_b32 s8, 0
	s_cmp_eq_u32 s24, 1
	s_waitcnt lgkmcnt(0)
	s_barrier
	buffer_gl0_inv
	s_cbranch_scc1 .LBB0_67
; %bb.47:
	s_load_b32 s10, s[0:1], 0x50
	v_dual_mov_b32 v20, s30 :: v_dual_add_nc_u32 v1, -1, v0
	v_bfe_i32 v2, v6, 0, 8
	v_xad_u32 v7, v0, -1, s13
	v_add_nc_u32_e32 v19, 1, v0
	s_delay_alu instid0(VALU_DEP_4)
	v_dual_mov_b32 v26, 0 :: v_dual_and_b32 v1, 31, v1
	v_cmp_lt_u32_e64 s1, 31, v0
	v_cmp_eq_u32_e64 s0, 31, v5
	v_or_b32_e32 v8, 0x1d40, v4
	v_or_b32_e32 v9, 0x1dc0, v4
	;; [unrolled: 1-line block ×5, first 2 shown]
	v_add_nc_u32_e32 v13, 0x1d7e, v4
	v_dual_mov_b32 v21, 1 :: v_dual_add_nc_u32 v14, 0x1dbe, v4
	v_dual_mov_b32 v24, 0 :: v_dual_add_nc_u32 v15, -2, v3
	v_add_nc_u32_e32 v6, 0x7fe, v3
	v_add_nc_u32_e32 v16, 0x1d3e, v4
	;; [unrolled: 1-line block ×3, first 2 shown]
	v_lshl_add_u32 v18, v2, 1, 0x1c80
	v_cndmask_b32_e64 v19, v19, v7, s2
	v_dual_mov_b32 v7, 0 :: v_dual_lshlrev_b32 v22, 2, v1
	v_mov_b32_e32 v27, 0
	v_dual_mov_b32 v1, 0 :: v_dual_mov_b32 v2, 0
	v_mov_b32_e32 v25, 0
	s_max_u32 s9, s28, s29
	s_waitcnt lgkmcnt(0)
	s_lshr_b32 s11, s10, 16
	s_and_b32 s1, s1, vcc_lo
	s_add_i32 s24, s24, -1
	v_mov_b32_e32 v23, v27
	s_and_saveexec_b32 s25, s0
	s_cbranch_execz .LBB0_49
.LBB0_48:
	ds_store_b16 v10, v26
	ds_store_b16 v9, v23
	;; [unrolled: 1-line block ×3, first 2 shown]
.LBB0_49:                               ; =>This Inner Loop Header: Depth=1
	s_or_b32 exec_lo, exec_lo, s25
	s_cmp_ge_u32 s8, s9
	s_cselect_b32 s28, -1, 0
	s_cmp_lt_u32 s8, s9
	s_cselect_b32 s29, -1, 0
	s_delay_alu instid0(SALU_CYCLE_1)
	s_and_b32 vcc_lo, exec_lo, s29
	s_cbranch_vccnz .LBB0_51
; %bb.50:                               ;   in Loop: Header=BB0_49 Depth=1
	ds_store_b16 v3, v26
	ds_store_b16 v12, v23
	;; [unrolled: 1-line block ×3, first 2 shown]
.LBB0_51:                               ;   in Loop: Header=BB0_49 Depth=1
	s_cmp_lt_u32 s8, s13
	s_waitcnt lgkmcnt(0)
	s_cselect_b32 s25, -1, 0
	s_barrier
	s_or_b32 s25, s25, s28
	buffer_gl0_inv
	v_cndmask_b32_e64 v27, 0, 1, s25
	v_mov_b32_e32 v29, 0
	s_mov_b32 s30, 0
	v_mov_b32_e32 v28, 0
	s_delay_alu instid0(VALU_DEP_3) | instskip(NEXT) | instid1(VALU_DEP_1)
	v_sub_nc_u32_e32 v20, v20, v27
	v_add_nc_u32_e32 v27, v20, v0
	ds_load_u8 v27, v27
	s_waitcnt lgkmcnt(0)
	v_cmp_ne_u16_e32 vcc_lo, 0, v27
	v_mov_b32_e32 v27, 0
	s_and_b32 s31, s3, vcc_lo
	s_delay_alu instid0(SALU_CYCLE_1)
	s_and_saveexec_b32 s25, s31
	s_cbranch_execz .LBB0_62
; %bb.52:                               ;   in Loop: Header=BB0_49 Depth=1
	v_bfe_i32 v26, v26, 0, 16
	v_and_b32_e32 v27, 0xffff, v23
	s_and_b32 vcc_lo, exec_lo, s29
	ds_bpermute_b32 v26, v22, v26
	ds_bpermute_b32 v27, v22, v27
	s_cbranch_vccz .LBB0_64
; %bb.53:                               ;   in Loop: Header=BB0_49 Depth=1
	s_and_saveexec_b32 s30, s1
	s_cbranch_execz .LBB0_55
; %bb.54:                               ;   in Loop: Header=BB0_49 Depth=1
	s_waitcnt lgkmcnt(1)
	ds_load_u16 v26, v13
.LBB0_55:                               ;   in Loop: Header=BB0_49 Depth=1
	s_or_b32 exec_lo, exec_lo, s30
	s_mov_b32 s30, s1
	s_branch .LBB0_65
.LBB0_56:                               ;   in Loop: Header=BB0_49 Depth=1
	s_waitcnt lgkmcnt(0)
	ds_load_u16 v26, v15
	v_mov_b32_e32 v28, v6
	s_or_b32 s30, s30, exec_lo
                                        ; implicit-def: $vgpr27
	s_delay_alu instid0(SALU_CYCLE_1)
	s_and_saveexec_b32 s31, s30
	s_cbranch_execz .LBB0_58
.LBB0_57:                               ;   in Loop: Header=BB0_49 Depth=1
	s_waitcnt lgkmcnt(0)
	ds_load_u16 v27, v28
.LBB0_58:                               ;   in Loop: Header=BB0_49 Depth=1
	s_or_b32 exec_lo, exec_lo, s31
	v_and_b32_e32 v25, 0xffff, v25
	s_and_not1_b32 vcc_lo, exec_lo, s29
	ds_bpermute_b32 v25, v22, v25
	s_cbranch_vccnz .LBB0_66
; %bb.59:                               ;   in Loop: Header=BB0_49 Depth=1
	v_mov_b32_e32 v28, v16
	s_and_not1_b32 s28, s28, exec_lo
	s_and_b32 s29, s1, exec_lo
	s_delay_alu instid0(SALU_CYCLE_1) | instskip(NEXT) | instid1(SALU_CYCLE_1)
	s_or_b32 s28, s28, s29
	s_and_saveexec_b32 s29, s28
	s_cbranch_execz .LBB0_61
.LBB0_60:                               ;   in Loop: Header=BB0_49 Depth=1
	s_waitcnt lgkmcnt(0)
	ds_load_u16 v25, v28
.LBB0_61:                               ;   in Loop: Header=BB0_49 Depth=1
	s_or_b32 exec_lo, exec_lo, s29
	v_add_nc_u32_e32 v28, -1, v21
	v_sub_nc_u32_e32 v30, s9, v21
	v_add_nc_u16 v24, v24, s11
	s_waitcnt lgkmcnt(1)
	v_add_nc_u16 v26, v26, s11
	v_add_nc_u16 v27, v27, s10
	v_ashrrev_i32_e32 v29, 31, v28
	v_cndmask_b32_e64 v28, v28, v30, s2
	s_waitcnt lgkmcnt(0)
	v_cndmask_b32_e64 v25, v25, 0, s4
	v_cndmask_b32_e64 v26, v26, 0, s4
	;; [unrolled: 1-line block ×4, first 2 shown]
	v_add_co_u32 v28, vcc_lo, s22, v28
	s_delay_alu instid0(VALU_DEP_2)
	v_add_co_ci_u32_e32 v29, vcc_lo, s23, v29, vcc_lo
	flat_load_i8 v28, v[28:29]
	s_waitcnt vmcnt(0) lgkmcnt(0)
	v_lshlrev_b32_e32 v28, 1, v28
	ds_load_i16 v28, v28 offset:7296
	ds_load_i16 v29, v18
	s_waitcnt lgkmcnt(1)
	v_mul_i32_i24_e32 v28, 24, v28
	s_waitcnt lgkmcnt(0)
	s_delay_alu instid0(VALU_DEP_1) | instskip(SKIP_2) | instid1(VALU_DEP_1)
	v_add_lshl_u32 v28, v28, v29, 1
	ds_load_u16 v29, v28 offset:6144
	v_add_nc_u16 v28, v23, s10
	v_max_i16 v28, v24, v28
	s_waitcnt lgkmcnt(0)
	v_add_nc_u16 v24, v29, v25
	v_max_i16 v29, v26, v27
	s_delay_alu instid0(VALU_DEP_2) | instskip(NEXT) | instid1(VALU_DEP_1)
	v_max_i16 v24, v24, v28
	v_max3_i16 v27, v24, v29, 0
	v_cndmask_b32_e64 v24, v21, v30, s2
	v_add_nc_u32_e32 v21, 1, v21
	s_delay_alu instid0(VALU_DEP_3) | instskip(SKIP_1) | instid1(VALU_DEP_4)
	v_cmp_lt_i16_e32 vcc_lo, v7, v27
	v_max_i16 v7, v7, v27
	v_dual_cndmask_b32 v1, v1, v24 :: v_dual_cndmask_b32 v2, v2, v19
.LBB0_62:                               ;   in Loop: Header=BB0_49 Depth=1
	s_or_b32 exec_lo, exec_lo, s25
	s_add_i32 s8, s8, 1
	s_delay_alu instid0(SALU_CYCLE_1)
	s_cmp_eq_u32 s24, s8
	s_barrier
	buffer_gl0_inv
	s_cbranch_scc1 .LBB0_67
; %bb.63:                               ;   in Loop: Header=BB0_49 Depth=1
	v_dual_mov_b32 v26, v29 :: v_dual_mov_b32 v25, v23
	v_dual_mov_b32 v24, v28 :: v_dual_mov_b32 v23, v27
	s_and_saveexec_b32 s25, s0
	s_cbranch_execnz .LBB0_48
	s_branch .LBB0_49
.LBB0_64:                               ;   in Loop: Header=BB0_49 Depth=1
                                        ; implicit-def: $vgpr27
                                        ; implicit-def: $vgpr26
	s_cbranch_execnz .LBB0_56
.LBB0_65:                               ;   in Loop: Header=BB0_49 Depth=1
	v_mov_b32_e32 v28, v14
	s_and_saveexec_b32 s31, s30
	s_cbranch_execnz .LBB0_57
	s_branch .LBB0_58
.LBB0_66:                               ;   in Loop: Header=BB0_49 Depth=1
	v_mov_b32_e32 v28, v17
                                        ; implicit-def: $vgpr25
	s_and_saveexec_b32 s29, s28
	s_cbranch_execnz .LBB0_60
	s_branch .LBB0_61
.LBB0_67:
	v_mbcnt_lo_u32_b32 v10, -1, 0
	v_and_b32_e32 v12, 0xffff, v7
	v_bfe_i32 v16, v1, 0, 16
	v_bfe_i32 v9, v2, 0, 16
	s_mov_b32 s0, exec_lo
	v_cmp_gt_u32_e32 vcc_lo, 16, v10
	v_cndmask_b32_e64 v6, 0, 1, vcc_lo
	s_delay_alu instid0(VALU_DEP_1) | instskip(NEXT) | instid1(VALU_DEP_1)
	v_lshlrev_b32_e32 v6, 4, v6
	v_add_lshl_u32 v6, v6, v10, 2
	ds_bpermute_b32 v13, v6, v12
	ds_bpermute_b32 v11, v6, v16
	;; [unrolled: 1-line block ×3, first 2 shown]
	s_waitcnt lgkmcnt(2)
	v_bfe_i32 v15, v13, 0, 16
	s_delay_alu instid0(VALU_DEP_1) | instskip(SKIP_1) | instid1(VALU_DEP_1)
	v_cmp_lt_i32_e32 vcc_lo, v15, v12
	v_cndmask_b32_e32 v14, v13, v7, vcc_lo
	v_mov_b32_e32 v13, v14
	v_cmpx_eq_u16_e64 v14, v7
	s_cbranch_execz .LBB0_75
; %bb.68:
	v_cmp_eq_u32_e32 vcc_lo, v15, v12
	v_dual_mov_b32 v12, v2 :: v_dual_mov_b32 v15, v1
	s_and_saveexec_b32 s1, vcc_lo
	s_cbranch_execz .LBB0_74
; %bb.69:
	s_and_b32 vcc_lo, exec_lo, s26
	s_cbranch_vccz .LBB0_72
; %bb.70:
	s_waitcnt lgkmcnt(1)
	v_bfe_i32 v12, v11, 0, 16
	s_delay_alu instid0(VALU_DEP_1)
	v_cmp_lt_i32_e32 vcc_lo, v12, v16
	s_waitcnt lgkmcnt(0)
	v_dual_cndmask_b32 v15, v1, v11 :: v_dual_cndmask_b32 v12, v2, v8
	s_cbranch_execz .LBB0_73
	s_branch .LBB0_74
.LBB0_71:
                                        ; implicit-def: $sgpr28
                                        ; implicit-def: $sgpr29
                                        ; implicit-def: $sgpr24_sgpr25
                                        ; implicit-def: $sgpr22_sgpr23
	s_clause 0x1
	s_load_b64 s[16:17], s[0:1], 0x30
	s_load_b64 s[18:19], s[0:1], 0x40
	s_branch .LBB0_2
.LBB0_72:
                                        ; implicit-def: $vgpr12
                                        ; implicit-def: $vgpr15
.LBB0_73:
	s_waitcnt lgkmcnt(0)
	v_bfe_i32 v12, v8, 0, 16
	s_delay_alu instid0(VALU_DEP_1)
	v_cmp_gt_i32_e32 vcc_lo, v12, v9
	v_dual_cndmask_b32 v15, v1, v11 :: v_dual_cndmask_b32 v12, v2, v8
.LBB0_74:
	s_or_b32 exec_lo, exec_lo, s1
	s_waitcnt lgkmcnt(0)
	s_delay_alu instid0(VALU_DEP_1) | instskip(NEXT) | instid1(VALU_DEP_2)
	v_dual_mov_b32 v13, v7 :: v_dual_mov_b32 v8, v12
	v_mov_b32_e32 v11, v15
.LBB0_75:
	s_or_b32 exec_lo, exec_lo, s0
	v_cmp_gt_u32_e32 vcc_lo, 24, v10
	v_bfe_i32 v15, v14, 0, 16
	s_waitcnt lgkmcnt(1)
	v_bfe_i32 v17, v11, 0, 16
	s_waitcnt lgkmcnt(0)
	v_bfe_i32 v16, v8, 0, 16
	s_mov_b32 s0, exec_lo
	v_cndmask_b32_e64 v7, 0, 1, vcc_lo
	s_delay_alu instid0(VALU_DEP_1) | instskip(NEXT) | instid1(VALU_DEP_1)
	v_lshlrev_b32_e32 v7, 3, v7
	v_add_lshl_u32 v7, v7, v10, 2
	ds_bpermute_b32 v19, v7, v15
	ds_bpermute_b32 v12, v7, v17
	;; [unrolled: 1-line block ×3, first 2 shown]
	s_waitcnt lgkmcnt(2)
	v_bfe_i32 v18, v19, 0, 16
	s_delay_alu instid0(VALU_DEP_1) | instskip(SKIP_1) | instid1(VALU_DEP_1)
	v_cmp_lt_i32_e32 vcc_lo, v18, v15
	v_cndmask_b32_e32 v15, v19, v14, vcc_lo
	v_mov_b32_e32 v14, v15
	v_cmpx_eq_u16_e64 v15, v13
	s_cbranch_execz .LBB0_83
; %bb.76:
	v_bfe_i32 v14, v13, 0, 16
	s_mov_b32 s1, exec_lo
	s_delay_alu instid0(VALU_DEP_1)
	v_cmpx_eq_u32_e64 v18, v14
	s_cbranch_execz .LBB0_82
; %bb.77:
	s_and_not1_b32 vcc_lo, exec_lo, s26
	s_cbranch_vccnz .LBB0_79
; %bb.78:
	s_waitcnt lgkmcnt(1)
	v_bfe_i32 v14, v12, 0, 16
	s_delay_alu instid0(VALU_DEP_1)
	v_cmp_lt_i32_e32 vcc_lo, v14, v17
	s_waitcnt lgkmcnt(0)
	v_dual_cndmask_b32 v14, v11, v12 :: v_dual_cndmask_b32 v17, v8, v9
	s_cbranch_execz .LBB0_80
	s_branch .LBB0_81
.LBB0_79:
                                        ; implicit-def: $vgpr17
                                        ; implicit-def: $vgpr14
.LBB0_80:
	s_waitcnt lgkmcnt(0)
	v_bfe_i32 v14, v9, 0, 16
	s_delay_alu instid0(VALU_DEP_1)
	v_cmp_gt_i32_e32 vcc_lo, v14, v16
	v_dual_cndmask_b32 v14, v11, v12 :: v_dual_cndmask_b32 v17, v8, v9
.LBB0_81:
	s_delay_alu instid0(VALU_DEP_1)
	v_dual_mov_b32 v8, v17 :: v_dual_mov_b32 v11, v14
.LBB0_82:
	s_or_b32 exec_lo, exec_lo, s1
	s_waitcnt lgkmcnt(0)
	s_delay_alu instid0(VALU_DEP_1) | instskip(NEXT) | instid1(VALU_DEP_2)
	v_dual_mov_b32 v14, v13 :: v_dual_mov_b32 v9, v8
	v_mov_b32_e32 v12, v11
.LBB0_83:
	s_or_b32 exec_lo, exec_lo, s0
	v_cmp_gt_u32_e32 vcc_lo, 28, v10
	v_bfe_i32 v16, v15, 0, 16
	s_waitcnt lgkmcnt(1)
	v_bfe_i32 v18, v12, 0, 16
	s_waitcnt lgkmcnt(0)
	v_bfe_i32 v17, v9, 0, 16
	s_mov_b32 s0, exec_lo
	v_cndmask_b32_e64 v8, 0, 1, vcc_lo
	s_delay_alu instid0(VALU_DEP_1) | instskip(NEXT) | instid1(VALU_DEP_1)
	v_lshlrev_b32_e32 v8, 2, v8
	v_add_lshl_u32 v8, v8, v10, 2
	ds_bpermute_b32 v20, v8, v16
	ds_bpermute_b32 v13, v8, v18
	;; [unrolled: 1-line block ×3, first 2 shown]
	s_waitcnt lgkmcnt(2)
	v_bfe_i32 v19, v20, 0, 16
	s_delay_alu instid0(VALU_DEP_1) | instskip(SKIP_1) | instid1(VALU_DEP_1)
	v_cmp_lt_i32_e32 vcc_lo, v19, v16
	v_cndmask_b32_e32 v16, v20, v15, vcc_lo
	v_mov_b32_e32 v15, v16
	v_cmpx_eq_u16_e64 v16, v14
	s_cbranch_execz .LBB0_91
; %bb.84:
	v_bfe_i32 v15, v14, 0, 16
	s_mov_b32 s1, exec_lo
	s_delay_alu instid0(VALU_DEP_1)
	v_cmpx_eq_u32_e64 v19, v15
	s_cbranch_execz .LBB0_90
; %bb.85:
	s_and_not1_b32 vcc_lo, exec_lo, s26
	s_cbranch_vccnz .LBB0_87
; %bb.86:
	s_waitcnt lgkmcnt(1)
	v_bfe_i32 v15, v13, 0, 16
	s_delay_alu instid0(VALU_DEP_1)
	v_cmp_lt_i32_e32 vcc_lo, v15, v18
	s_waitcnt lgkmcnt(0)
	v_dual_cndmask_b32 v15, v12, v13 :: v_dual_cndmask_b32 v18, v9, v11
	s_cbranch_execz .LBB0_88
	s_branch .LBB0_89
.LBB0_87:
                                        ; implicit-def: $vgpr18
                                        ; implicit-def: $vgpr15
.LBB0_88:
	s_waitcnt lgkmcnt(0)
	v_bfe_i32 v15, v11, 0, 16
	s_delay_alu instid0(VALU_DEP_1)
	v_cmp_gt_i32_e32 vcc_lo, v15, v17
	v_dual_cndmask_b32 v15, v12, v13 :: v_dual_cndmask_b32 v18, v9, v11
.LBB0_89:
	s_delay_alu instid0(VALU_DEP_1)
	v_dual_mov_b32 v9, v18 :: v_dual_mov_b32 v12, v15
.LBB0_90:
	s_or_b32 exec_lo, exec_lo, s1
	v_mov_b32_e32 v15, v14
	s_waitcnt lgkmcnt(1)
	s_delay_alu instid0(VALU_DEP_2)
	v_mov_b32_e32 v13, v12
	s_waitcnt lgkmcnt(0)
	v_mov_b32_e32 v11, v9
.LBB0_91:
	s_or_b32 exec_lo, exec_lo, s0
	v_cmp_gt_u32_e32 vcc_lo, 30, v10
	v_bfe_i32 v17, v16, 0, 16
	s_waitcnt lgkmcnt(1)
	v_bfe_i32 v19, v13, 0, 16
	s_waitcnt lgkmcnt(0)
	v_bfe_i32 v18, v11, 0, 16
	s_mov_b32 s0, exec_lo
	v_cndmask_b32_e64 v9, 0, 1, vcc_lo
	s_delay_alu instid0(VALU_DEP_1) | instskip(NEXT) | instid1(VALU_DEP_1)
	v_lshlrev_b32_e32 v9, 1, v9
	v_add_lshl_u32 v9, v9, v10, 2
	ds_bpermute_b32 v21, v9, v17
	ds_bpermute_b32 v14, v9, v19
	;; [unrolled: 1-line block ×3, first 2 shown]
	s_waitcnt lgkmcnt(2)
	v_bfe_i32 v20, v21, 0, 16
	s_delay_alu instid0(VALU_DEP_1) | instskip(SKIP_1) | instid1(VALU_DEP_1)
	v_cmp_lt_i32_e32 vcc_lo, v20, v17
	v_cndmask_b32_e32 v17, v21, v16, vcc_lo
	v_mov_b32_e32 v16, v17
	v_cmpx_eq_u16_e64 v17, v15
	s_cbranch_execz .LBB0_99
; %bb.92:
	v_bfe_i32 v16, v15, 0, 16
	s_mov_b32 s1, exec_lo
	s_delay_alu instid0(VALU_DEP_1)
	v_cmpx_eq_u32_e64 v20, v16
	s_cbranch_execz .LBB0_98
; %bb.93:
	s_and_not1_b32 vcc_lo, exec_lo, s26
	s_cbranch_vccnz .LBB0_95
; %bb.94:
	s_waitcnt lgkmcnt(1)
	v_bfe_i32 v16, v14, 0, 16
	s_delay_alu instid0(VALU_DEP_1)
	v_cmp_lt_i32_e32 vcc_lo, v16, v19
	s_waitcnt lgkmcnt(0)
	v_dual_cndmask_b32 v16, v13, v14 :: v_dual_cndmask_b32 v19, v11, v12
	s_cbranch_execz .LBB0_96
	s_branch .LBB0_97
.LBB0_95:
                                        ; implicit-def: $vgpr19
                                        ; implicit-def: $vgpr16
.LBB0_96:
	s_waitcnt lgkmcnt(0)
	v_bfe_i32 v16, v12, 0, 16
	s_delay_alu instid0(VALU_DEP_1)
	v_cmp_gt_i32_e32 vcc_lo, v16, v18
	v_dual_cndmask_b32 v16, v13, v14 :: v_dual_cndmask_b32 v19, v11, v12
.LBB0_97:
	s_delay_alu instid0(VALU_DEP_1) | instskip(NEXT) | instid1(VALU_DEP_2)
	v_mov_b32_e32 v11, v19
	v_mov_b32_e32 v13, v16
.LBB0_98:
	s_or_b32 exec_lo, exec_lo, s1
	v_mov_b32_e32 v16, v15
	s_waitcnt lgkmcnt(1)
	s_delay_alu instid0(VALU_DEP_2)
	v_mov_b32_e32 v14, v13
	s_waitcnt lgkmcnt(0)
	v_mov_b32_e32 v12, v11
.LBB0_99:
	s_or_b32 exec_lo, exec_lo, s0
	v_cmp_ne_u32_e32 vcc_lo, 31, v10
	v_bfe_i32 v20, v17, 0, 16
	s_waitcnt lgkmcnt(1)
	v_bfe_i32 v18, v14, 0, 16
	s_waitcnt lgkmcnt(0)
	v_bfe_i32 v15, v12, 0, 16
	s_mov_b32 s0, exec_lo
	v_add_co_ci_u32_e32 v10, vcc_lo, 0, v10, vcc_lo
	s_delay_alu instid0(VALU_DEP_1) | instskip(SKIP_3) | instid1(VALU_DEP_1)
	v_lshlrev_b32_e32 v10, 2, v10
	ds_bpermute_b32 v21, v10, v20
	s_waitcnt lgkmcnt(0)
	v_bfe_i32 v19, v21, 0, 16
	v_cmp_lt_i32_e32 vcc_lo, v19, v20
	v_cndmask_b32_e32 v17, v21, v17, vcc_lo
	ds_bpermute_b32 v13, v10, v18
	ds_bpermute_b32 v11, v10, v15
	v_cmpx_eq_u16_e64 v17, v16
	s_cbranch_execz .LBB0_107
; %bb.100:
	v_bfe_i32 v17, v16, 0, 16
	s_mov_b32 s1, exec_lo
	s_delay_alu instid0(VALU_DEP_1)
	v_cmpx_eq_u32_e64 v19, v17
	s_cbranch_execz .LBB0_106
; %bb.101:
	s_and_not1_b32 vcc_lo, exec_lo, s26
	s_cbranch_vccnz .LBB0_103
; %bb.102:
	s_waitcnt lgkmcnt(1)
	v_bfe_i32 v17, v13, 0, 16
	s_delay_alu instid0(VALU_DEP_1)
	v_cmp_lt_i32_e32 vcc_lo, v17, v18
	s_waitcnt lgkmcnt(0)
	v_dual_cndmask_b32 v17, v14, v13 :: v_dual_cndmask_b32 v18, v12, v11
	s_cbranch_execz .LBB0_104
	s_branch .LBB0_105
.LBB0_103:
                                        ; implicit-def: $vgpr18
                                        ; implicit-def: $vgpr17
.LBB0_104:
	s_waitcnt lgkmcnt(0)
	v_bfe_i32 v17, v11, 0, 16
	s_delay_alu instid0(VALU_DEP_1)
	v_cmp_gt_i32_e32 vcc_lo, v17, v15
	v_dual_cndmask_b32 v17, v14, v13 :: v_dual_cndmask_b32 v18, v12, v11
.LBB0_105:
	s_delay_alu instid0(VALU_DEP_1) | instskip(NEXT) | instid1(VALU_DEP_2)
	v_mov_b32_e32 v12, v18
	v_mov_b32_e32 v14, v17
.LBB0_106:
	s_or_b32 exec_lo, exec_lo, s1
	v_mov_b32_e32 v17, v16
	s_waitcnt lgkmcnt(1)
	s_delay_alu instid0(VALU_DEP_2)
	v_mov_b32_e32 v13, v14
	s_waitcnt lgkmcnt(0)
	v_mov_b32_e32 v11, v12
.LBB0_107:
	s_or_b32 exec_lo, exec_lo, s0
	s_delay_alu instid0(SALU_CYCLE_1)
	s_mov_b32 s0, exec_lo
	v_cmpx_eq_u32_e32 0, v5
	s_cbranch_execz .LBB0_109
; %bb.108:
	s_waitcnt lgkmcnt(1)
	ds_store_b16 v4, v13 offset:7680
	ds_store_b16 v4, v17 offset:7744
	s_waitcnt lgkmcnt(2)
	ds_store_b16 v4, v11 offset:7808
.LBB0_109:
	s_or_b32 exec_lo, exec_lo, s0
	s_add_i32 s5, s5, 31
	s_waitcnt lgkmcnt(0)
	v_dual_mov_b32 v11, -1 :: v_dual_mov_b32 v4, 0
	s_lshr_b32 s0, s5, 5
	v_mov_b32_e32 v12, -1
	v_cmp_gt_u32_e32 vcc_lo, s0, v0
	s_barrier
	buffer_gl0_inv
	s_and_saveexec_b32 s0, vcc_lo
	s_cbranch_execz .LBB0_111
; %bb.110:
	ds_load_u16 v12, v3 offset:7808
	ds_load_u16 v4, v3 offset:7744
	;; [unrolled: 1-line block ×3, first 2 shown]
.LBB0_111:
	s_or_b32 exec_lo, exec_lo, s0
	s_delay_alu instid0(SALU_CYCLE_1)
	s_mov_b32 s0, exec_lo
	s_waitcnt lgkmcnt(0)
	s_barrier
	buffer_gl0_inv
	v_cmpx_gt_u32_e32 32, v0
	s_cbranch_execz .LBB0_153
; %bb.112:
	v_bfe_i32 v14, v4, 0, 16
	v_bfe_i32 v3, v11, 0, 16
	;; [unrolled: 1-line block ×3, first 2 shown]
	s_mov_b32 s1, exec_lo
	ds_bpermute_b32 v13, v6, v14
	ds_bpermute_b32 v5, v6, v3
	;; [unrolled: 1-line block ×3, first 2 shown]
	s_waitcnt lgkmcnt(2)
	v_bfe_i32 v15, v13, 0, 16
	s_delay_alu instid0(VALU_DEP_1) | instskip(SKIP_1) | instid1(VALU_DEP_1)
	v_cmp_lt_i32_e32 vcc_lo, v15, v14
	v_cndmask_b32_e32 v13, v13, v4, vcc_lo
	v_mov_b32_e32 v6, v13
	v_cmpx_eq_u16_e64 v13, v4
	s_cbranch_execz .LBB0_120
; %bb.113:
	s_mov_b32 s2, exec_lo
	v_cmpx_eq_u32_e64 v15, v14
	s_cbranch_execz .LBB0_119
; %bb.114:
	s_and_b32 vcc_lo, exec_lo, s26
	s_cbranch_vccz .LBB0_116
; %bb.115:
	s_waitcnt lgkmcnt(1)
	v_bfe_i32 v6, v5, 0, 16
	s_delay_alu instid0(VALU_DEP_1)
	v_cmp_lt_i32_e32 vcc_lo, v6, v3
	s_waitcnt lgkmcnt(0)
	v_dual_cndmask_b32 v3, v11, v5 :: v_dual_cndmask_b32 v6, v12, v2
	s_cbranch_execz .LBB0_117
	s_branch .LBB0_118
.LBB0_116:
                                        ; implicit-def: $vgpr6
                                        ; implicit-def: $vgpr3
.LBB0_117:
	s_waitcnt lgkmcnt(0)
	v_bfe_i32 v3, v2, 0, 16
	s_delay_alu instid0(VALU_DEP_1)
	v_cmp_gt_i32_e32 vcc_lo, v3, v1
	v_dual_cndmask_b32 v3, v11, v5 :: v_dual_cndmask_b32 v6, v12, v2
.LBB0_118:
	s_delay_alu instid0(VALU_DEP_1)
	v_dual_mov_b32 v12, v6 :: v_dual_mov_b32 v11, v3
.LBB0_119:
	s_or_b32 exec_lo, exec_lo, s2
	s_waitcnt lgkmcnt(1)
	s_delay_alu instid0(VALU_DEP_1)
	v_dual_mov_b32 v6, v4 :: v_dual_mov_b32 v5, v11
	s_waitcnt lgkmcnt(0)
	v_mov_b32_e32 v2, v12
.LBB0_120:
	s_or_b32 exec_lo, exec_lo, s1
	v_bfe_i32 v11, v13, 0, 16
	s_waitcnt lgkmcnt(1)
	v_bfe_i32 v12, v5, 0, 16
	s_waitcnt lgkmcnt(0)
	v_bfe_i32 v4, v2, 0, 16
	s_mov_b32 s1, exec_lo
	ds_bpermute_b32 v15, v7, v11
	ds_bpermute_b32 v3, v7, v12
	;; [unrolled: 1-line block ×3, first 2 shown]
	s_waitcnt lgkmcnt(2)
	v_bfe_i32 v14, v15, 0, 16
	s_delay_alu instid0(VALU_DEP_1) | instskip(SKIP_1) | instid1(VALU_DEP_1)
	v_cmp_lt_i32_e32 vcc_lo, v14, v11
	v_cndmask_b32_e32 v11, v15, v13, vcc_lo
	v_mov_b32_e32 v7, v11
	v_cmpx_eq_u16_e64 v11, v6
	s_cbranch_execz .LBB0_128
; %bb.121:
	v_bfe_i32 v7, v6, 0, 16
	s_mov_b32 s2, exec_lo
	s_delay_alu instid0(VALU_DEP_1)
	v_cmpx_eq_u32_e64 v14, v7
	s_cbranch_execz .LBB0_127
; %bb.122:
	s_and_not1_b32 vcc_lo, exec_lo, s26
	s_cbranch_vccnz .LBB0_124
; %bb.123:
	s_waitcnt lgkmcnt(1)
	v_bfe_i32 v7, v3, 0, 16
	s_delay_alu instid0(VALU_DEP_1)
	v_cmp_lt_i32_e32 vcc_lo, v7, v12
	s_waitcnt lgkmcnt(0)
	v_dual_cndmask_b32 v7, v5, v3 :: v_dual_cndmask_b32 v12, v2, v1
	s_cbranch_execz .LBB0_125
	s_branch .LBB0_126
.LBB0_124:
                                        ; implicit-def: $vgpr12
                                        ; implicit-def: $vgpr7
.LBB0_125:
	s_waitcnt lgkmcnt(0)
	v_bfe_i32 v7, v1, 0, 16
	s_delay_alu instid0(VALU_DEP_1)
	v_cmp_gt_i32_e32 vcc_lo, v7, v4
	v_dual_cndmask_b32 v7, v5, v3 :: v_dual_cndmask_b32 v12, v2, v1
.LBB0_126:
	s_delay_alu instid0(VALU_DEP_1)
	v_dual_mov_b32 v2, v12 :: v_dual_mov_b32 v5, v7
.LBB0_127:
	s_or_b32 exec_lo, exec_lo, s2
	v_mov_b32_e32 v7, v6
	s_waitcnt lgkmcnt(1)
	s_delay_alu instid0(VALU_DEP_2)
	v_mov_b32_e32 v3, v5
	s_waitcnt lgkmcnt(0)
	v_mov_b32_e32 v1, v2
.LBB0_128:
	s_or_b32 exec_lo, exec_lo, s1
	v_bfe_i32 v6, v11, 0, 16
	s_waitcnt lgkmcnt(1)
	v_bfe_i32 v12, v3, 0, 16
	s_waitcnt lgkmcnt(0)
	v_bfe_i32 v5, v1, 0, 16
	s_mov_b32 s1, exec_lo
	ds_bpermute_b32 v14, v8, v6
	ds_bpermute_b32 v4, v8, v12
	;; [unrolled: 1-line block ×3, first 2 shown]
	s_waitcnt lgkmcnt(2)
	v_bfe_i32 v13, v14, 0, 16
	s_delay_alu instid0(VALU_DEP_1) | instskip(SKIP_1) | instid1(VALU_DEP_1)
	v_cmp_lt_i32_e32 vcc_lo, v13, v6
	v_cndmask_b32_e32 v8, v14, v11, vcc_lo
	v_mov_b32_e32 v6, v8
	v_cmpx_eq_u16_e64 v8, v7
	s_cbranch_execz .LBB0_136
; %bb.129:
	v_bfe_i32 v6, v7, 0, 16
	s_mov_b32 s2, exec_lo
	s_delay_alu instid0(VALU_DEP_1)
	v_cmpx_eq_u32_e64 v13, v6
	s_cbranch_execz .LBB0_135
; %bb.130:
	s_and_not1_b32 vcc_lo, exec_lo, s26
	s_cbranch_vccnz .LBB0_132
; %bb.131:
	s_waitcnt lgkmcnt(1)
	v_bfe_i32 v6, v4, 0, 16
	s_delay_alu instid0(VALU_DEP_1)
	v_cmp_lt_i32_e32 vcc_lo, v6, v12
	s_waitcnt lgkmcnt(0)
	v_dual_cndmask_b32 v6, v3, v4 :: v_dual_cndmask_b32 v11, v1, v2
	s_cbranch_execz .LBB0_133
	s_branch .LBB0_134
.LBB0_132:
                                        ; implicit-def: $vgpr11
                                        ; implicit-def: $vgpr6
.LBB0_133:
	s_waitcnt lgkmcnt(0)
	v_bfe_i32 v6, v2, 0, 16
	s_delay_alu instid0(VALU_DEP_1)
	v_cmp_gt_i32_e32 vcc_lo, v6, v5
	v_dual_cndmask_b32 v6, v3, v4 :: v_dual_cndmask_b32 v11, v1, v2
.LBB0_134:
	s_delay_alu instid0(VALU_DEP_1) | instskip(NEXT) | instid1(VALU_DEP_2)
	v_mov_b32_e32 v1, v11
	v_mov_b32_e32 v3, v6
.LBB0_135:
	s_or_b32 exec_lo, exec_lo, s2
	v_mov_b32_e32 v6, v7
	s_waitcnt lgkmcnt(1)
	s_delay_alu instid0(VALU_DEP_2)
	v_mov_b32_e32 v4, v3
	s_waitcnt lgkmcnt(0)
	v_mov_b32_e32 v2, v1
.LBB0_136:
	s_or_b32 exec_lo, exec_lo, s1
	v_bfe_i32 v7, v8, 0, 16
	s_waitcnt lgkmcnt(1)
	v_bfe_i32 v11, v4, 0, 16
	s_waitcnt lgkmcnt(0)
	v_bfe_i32 v1, v2, 0, 16
	s_mov_b32 s1, exec_lo
	ds_bpermute_b32 v12, v9, v7
	ds_bpermute_b32 v5, v9, v11
	ds_bpermute_b32 v3, v9, v1
	s_waitcnt lgkmcnt(2)
	v_bfe_i32 v9, v12, 0, 16
	s_delay_alu instid0(VALU_DEP_1) | instskip(SKIP_1) | instid1(VALU_DEP_1)
	v_cmp_lt_i32_e32 vcc_lo, v9, v7
	v_cndmask_b32_e32 v8, v12, v8, vcc_lo
	v_mov_b32_e32 v7, v8
	v_cmpx_eq_u16_e64 v8, v6
	s_cbranch_execz .LBB0_144
; %bb.137:
	v_bfe_i32 v7, v6, 0, 16
	s_mov_b32 s2, exec_lo
	s_delay_alu instid0(VALU_DEP_1)
	v_cmpx_eq_u32_e64 v9, v7
	s_cbranch_execz .LBB0_143
; %bb.138:
	s_and_not1_b32 vcc_lo, exec_lo, s26
	s_cbranch_vccnz .LBB0_140
; %bb.139:
	s_waitcnt lgkmcnt(1)
	v_bfe_i32 v7, v5, 0, 16
	s_delay_alu instid0(VALU_DEP_1)
	v_cmp_lt_i32_e32 vcc_lo, v7, v11
	v_cndmask_b32_e32 v7, v4, v5, vcc_lo
	s_waitcnt lgkmcnt(0)
	v_cndmask_b32_e32 v9, v2, v3, vcc_lo
	s_cbranch_execz .LBB0_141
	s_branch .LBB0_142
.LBB0_140:
                                        ; implicit-def: $vgpr9
                                        ; implicit-def: $vgpr7
.LBB0_141:
	s_waitcnt lgkmcnt(0)
	v_bfe_i32 v7, v3, 0, 16
	s_delay_alu instid0(VALU_DEP_1)
	v_cmp_gt_i32_e32 vcc_lo, v7, v1
	v_cndmask_b32_e32 v7, v4, v5, vcc_lo
	v_cndmask_b32_e32 v9, v2, v3, vcc_lo
.LBB0_142:
	s_delay_alu instid0(VALU_DEP_1) | instskip(NEXT) | instid1(VALU_DEP_3)
	v_mov_b32_e32 v2, v9
	v_mov_b32_e32 v4, v7
.LBB0_143:
	s_or_b32 exec_lo, exec_lo, s2
	v_mov_b32_e32 v7, v6
	s_waitcnt lgkmcnt(1)
	s_delay_alu instid0(VALU_DEP_2)
	v_mov_b32_e32 v5, v4
	s_waitcnt lgkmcnt(0)
	v_mov_b32_e32 v3, v2
.LBB0_144:
	s_or_b32 exec_lo, exec_lo, s1
	v_bfe_i32 v4, v8, 0, 16
	s_waitcnt lgkmcnt(1)
	v_bfe_i32 v9, v5, 0, 16
	s_waitcnt lgkmcnt(0)
	v_bfe_i32 v6, v3, 0, 16
	s_mov_b32 s1, exec_lo
	ds_bpermute_b32 v11, v10, v4
	ds_bpermute_b32 v1, v10, v9
	;; [unrolled: 1-line block ×3, first 2 shown]
	s_waitcnt lgkmcnt(2)
	v_bfe_i32 v10, v11, 0, 16
	s_delay_alu instid0(VALU_DEP_1) | instskip(SKIP_1) | instid1(VALU_DEP_1)
	v_cmp_lt_i32_e32 vcc_lo, v10, v4
	v_cndmask_b32_e32 v4, v11, v8, vcc_lo
	v_cmpx_eq_u16_e64 v4, v7
	s_cbranch_execz .LBB0_152
; %bb.145:
	v_bfe_i32 v4, v7, 0, 16
	s_mov_b32 s2, exec_lo
	s_delay_alu instid0(VALU_DEP_1)
	v_cmpx_eq_u32_e64 v10, v4
	s_cbranch_execz .LBB0_151
; %bb.146:
	s_and_not1_b32 vcc_lo, exec_lo, s26
	s_cbranch_vccnz .LBB0_148
; %bb.147:
	s_waitcnt lgkmcnt(1)
	v_bfe_i32 v4, v1, 0, 16
	s_delay_alu instid0(VALU_DEP_1)
	v_cmp_lt_i32_e32 vcc_lo, v4, v9
	v_cndmask_b32_e32 v4, v5, v1, vcc_lo
	s_waitcnt lgkmcnt(0)
	v_cndmask_b32_e32 v8, v3, v2, vcc_lo
	s_cbranch_execz .LBB0_149
	s_branch .LBB0_150
.LBB0_148:
                                        ; implicit-def: $vgpr8
                                        ; implicit-def: $vgpr4
.LBB0_149:
	s_waitcnt lgkmcnt(0)
	v_bfe_i32 v4, v2, 0, 16
	s_delay_alu instid0(VALU_DEP_1)
	v_cmp_gt_i32_e32 vcc_lo, v4, v6
	v_cndmask_b32_e32 v4, v5, v1, vcc_lo
	v_cndmask_b32_e32 v8, v3, v2, vcc_lo
.LBB0_150:
	s_delay_alu instid0(VALU_DEP_1) | instskip(NEXT) | instid1(VALU_DEP_3)
	v_mov_b32_e32 v3, v8
	v_mov_b32_e32 v5, v4
.LBB0_151:
	s_or_b32 exec_lo, exec_lo, s2
	s_waitcnt lgkmcnt(1)
	s_delay_alu instid0(VALU_DEP_1)
	v_dual_mov_b32 v4, v7 :: v_dual_mov_b32 v1, v5
	s_waitcnt lgkmcnt(0)
	v_mov_b32_e32 v2, v3
.LBB0_152:
	s_or_b32 exec_lo, exec_lo, s1
.LBB0_153:
	s_delay_alu instid0(SALU_CYCLE_1)
	s_or_b32 exec_lo, exec_lo, s0
	v_cmp_eq_u32_e64 s0, 0, v0
	s_and_b32 vcc_lo, exec_lo, s26
	s_mov_b32 s1, -1
	s_cbranch_vccz .LBB0_160
; %bb.154:
	s_delay_alu instid0(VALU_DEP_1)
	s_and_saveexec_b32 s1, s0
	s_cbranch_execz .LBB0_159
; %bb.155:
	s_ashr_i32 s13, s12, 31
	s_mov_b32 s8, -1
	s_lshl_b64 s[4:5], s[12:13], 1
	s_delay_alu instid0(SALU_CYCLE_1)
	s_add_u32 s2, s20, s4
	s_addc_u32 s3, s21, s5
	s_and_b32 vcc_lo, exec_lo, s27
	s_cbranch_vccz .LBB0_157
; %bb.156:
	s_add_u32 s10, s16, s4
	v_mov_b32_e32 v0, 0
	s_addc_u32 s11, s17, s5
	s_add_u32 s8, s18, s4
	s_addc_u32 s9, s19, s5
	s_waitcnt lgkmcnt(0)
	global_store_b16 v0, v2, s[8:9]
	s_mov_b32 s8, 0
	s_clause 0x1
	global_store_b16 v0, v1, s[10:11]
	global_store_b16 v0, v4, s[2:3]
.LBB0_157:
	s_and_not1_b32 vcc_lo, exec_lo, s8
	s_cbranch_vccnz .LBB0_159
; %bb.158:
	s_add_u32 s8, s18, s4
	v_mov_b32_e32 v0, 0
	s_addc_u32 s9, s19, s5
	s_add_u32 s4, s16, s4
	s_addc_u32 s5, s17, s5
	s_waitcnt lgkmcnt(0)
	s_clause 0x2
	global_store_b16 v0, v2, s[4:5]
	global_store_b16 v0, v1, s[8:9]
	;; [unrolled: 1-line block ×3, first 2 shown]
.LBB0_159:
	s_or_b32 exec_lo, exec_lo, s1
	s_mov_b32 s1, 0
.LBB0_160:
	s_delay_alu instid0(SALU_CYCLE_1)
	s_and_not1_b32 vcc_lo, exec_lo, s1
	s_cbranch_vccnz .LBB0_166
; %bb.161:
	s_and_saveexec_b32 s1, s0
	s_cbranch_execz .LBB0_166
; %bb.162:
	s_ashr_i32 s13, s12, 31
	s_and_b32 vcc_lo, exec_lo, s27
	s_mov_b32 s0, -1
	s_cbranch_vccz .LBB0_164
; %bb.163:
	s_lshl_b64 s[0:1], s[12:13], 1
	v_mov_b32_e32 v0, 0
	s_add_u32 s2, s6, s0
	s_addc_u32 s3, s7, s1
	s_add_u32 s4, s14, s0
	s_addc_u32 s5, s15, s1
	s_mov_b32 s0, 0
	s_waitcnt lgkmcnt(1)
	global_store_b16 v0, v1, s[2:3]
	s_waitcnt lgkmcnt(0)
	global_store_b16 v0, v2, s[4:5]
.LBB0_164:
	s_and_not1_b32 vcc_lo, exec_lo, s0
	s_cbranch_vccnz .LBB0_166
; %bb.165:
	s_lshl_b64 s[0:1], s[12:13], 1
	v_mov_b32_e32 v0, 0
	s_add_u32 s2, s14, s0
	s_addc_u32 s3, s15, s1
	s_add_u32 s0, s6, s0
	s_addc_u32 s1, s7, s1
	s_waitcnt lgkmcnt(1)
	global_store_b16 v0, v1, s[2:3]
	s_waitcnt lgkmcnt(0)
	global_store_b16 v0, v2, s[0:1]
.LBB0_166:
	s_nop 0
	s_sendmsg sendmsg(MSG_DEALLOC_VGPRS)
	s_endpgm
	.section	.rodata,"a",@progbits
	.p2align	6, 0x0
	.amdhsa_kernel _Z18sequence_aa_kernelbPKcS0_PKjS2_PsS3_S3_S3_S3_ssPKsS5_
		.amdhsa_group_segment_fixed_size 7872
		.amdhsa_private_segment_fixed_size 0
		.amdhsa_kernarg_size 360
		.amdhsa_user_sgpr_count 15
		.amdhsa_user_sgpr_dispatch_ptr 0
		.amdhsa_user_sgpr_queue_ptr 0
		.amdhsa_user_sgpr_kernarg_segment_ptr 1
		.amdhsa_user_sgpr_dispatch_id 0
		.amdhsa_user_sgpr_private_segment_size 0
		.amdhsa_wavefront_size32 1
		.amdhsa_uses_dynamic_stack 0
		.amdhsa_enable_private_segment 0
		.amdhsa_system_sgpr_workgroup_id_x 1
		.amdhsa_system_sgpr_workgroup_id_y 0
		.amdhsa_system_sgpr_workgroup_id_z 0
		.amdhsa_system_sgpr_workgroup_info 0
		.amdhsa_system_vgpr_workitem_id 0
		.amdhsa_next_free_vgpr 31
		.amdhsa_next_free_sgpr 34
		.amdhsa_reserve_vcc 1
		.amdhsa_float_round_mode_32 0
		.amdhsa_float_round_mode_16_64 0
		.amdhsa_float_denorm_mode_32 3
		.amdhsa_float_denorm_mode_16_64 3
		.amdhsa_dx10_clamp 1
		.amdhsa_ieee_mode 1
		.amdhsa_fp16_overflow 0
		.amdhsa_workgroup_processor_mode 1
		.amdhsa_memory_ordered 1
		.amdhsa_forward_progress 0
		.amdhsa_shared_vgpr_count 0
		.amdhsa_exception_fp_ieee_invalid_op 0
		.amdhsa_exception_fp_denorm_src 0
		.amdhsa_exception_fp_ieee_div_zero 0
		.amdhsa_exception_fp_ieee_overflow 0
		.amdhsa_exception_fp_ieee_underflow 0
		.amdhsa_exception_fp_ieee_inexact 0
		.amdhsa_exception_int_div_zero 0
	.end_amdhsa_kernel
	.text
.Lfunc_end0:
	.size	_Z18sequence_aa_kernelbPKcS0_PKjS2_PsS3_S3_S3_S3_ssPKsS5_, .Lfunc_end0-_Z18sequence_aa_kernelbPKcS0_PKjS2_PsS3_S3_S3_S3_ssPKsS5_
                                        ; -- End function
	.section	.AMDGPU.csdata,"",@progbits
; Kernel info:
; codeLenInByte = 6792
; NumSgprs: 36
; NumVgprs: 31
; ScratchSize: 0
; MemoryBound: 0
; FloatMode: 240
; IeeeMode: 1
; LDSByteSize: 7872 bytes/workgroup (compile time only)
; SGPRBlocks: 4
; VGPRBlocks: 3
; NumSGPRsForWavesPerEU: 36
; NumVGPRsForWavesPerEU: 31
; Occupancy: 16
; WaveLimiterHint : 0
; COMPUTE_PGM_RSRC2:SCRATCH_EN: 0
; COMPUTE_PGM_RSRC2:USER_SGPR: 15
; COMPUTE_PGM_RSRC2:TRAP_HANDLER: 0
; COMPUTE_PGM_RSRC2:TGID_X_EN: 1
; COMPUTE_PGM_RSRC2:TGID_Y_EN: 0
; COMPUTE_PGM_RSRC2:TGID_Z_EN: 0
; COMPUTE_PGM_RSRC2:TIDIG_COMP_CNT: 0
	.text
	.p2alignl 7, 3214868480
	.fill 96, 4, 3214868480
	.type	__hip_cuid_53dd2077f3a49ea7,@object ; @__hip_cuid_53dd2077f3a49ea7
	.section	.bss,"aw",@nobits
	.globl	__hip_cuid_53dd2077f3a49ea7
__hip_cuid_53dd2077f3a49ea7:
	.byte	0                               ; 0x0
	.size	__hip_cuid_53dd2077f3a49ea7, 1

	.ident	"AMD clang version 19.0.0git (https://github.com/RadeonOpenCompute/llvm-project roc-6.4.0 25133 c7fe45cf4b819c5991fe208aaa96edf142730f1d)"
	.section	".note.GNU-stack","",@progbits
	.addrsig
	.addrsig_sym __hip_cuid_53dd2077f3a49ea7
	.amdgpu_metadata
---
amdhsa.kernels:
  - .args:
      - .offset:         0
        .size:           1
        .value_kind:     by_value
      - .actual_access:  read_only
        .address_space:  global
        .offset:         8
        .size:           8
        .value_kind:     global_buffer
      - .actual_access:  read_only
        .address_space:  global
        .offset:         16
        .size:           8
        .value_kind:     global_buffer
      - .actual_access:  read_only
        .address_space:  global
        .offset:         24
        .size:           8
        .value_kind:     global_buffer
      - .actual_access:  read_only
        .address_space:  global
        .offset:         32
        .size:           8
        .value_kind:     global_buffer
      - .actual_access:  write_only
        .address_space:  global
        .offset:         40
        .size:           8
        .value_kind:     global_buffer
      - .address_space:  global
        .offset:         48
        .size:           8
        .value_kind:     global_buffer
      - .actual_access:  write_only
        .address_space:  global
        .offset:         56
        .size:           8
        .value_kind:     global_buffer
      - .address_space:  global
        .offset:         64
        .size:           8
        .value_kind:     global_buffer
      - .actual_access:  write_only
        .address_space:  global
        .offset:         72
        .size:           8
        .value_kind:     global_buffer
      - .offset:         80
        .size:           2
        .value_kind:     by_value
      - .offset:         82
        .size:           2
        .value_kind:     by_value
      - .actual_access:  read_only
        .address_space:  global
        .offset:         88
        .size:           8
        .value_kind:     global_buffer
      - .actual_access:  read_only
        .address_space:  global
        .offset:         96
        .size:           8
        .value_kind:     global_buffer
      - .offset:         104
        .size:           4
        .value_kind:     hidden_block_count_x
      - .offset:         108
        .size:           4
        .value_kind:     hidden_block_count_y
      - .offset:         112
        .size:           4
        .value_kind:     hidden_block_count_z
      - .offset:         116
        .size:           2
        .value_kind:     hidden_group_size_x
      - .offset:         118
        .size:           2
        .value_kind:     hidden_group_size_y
      - .offset:         120
        .size:           2
        .value_kind:     hidden_group_size_z
      - .offset:         122
        .size:           2
        .value_kind:     hidden_remainder_x
      - .offset:         124
        .size:           2
        .value_kind:     hidden_remainder_y
      - .offset:         126
        .size:           2
        .value_kind:     hidden_remainder_z
      - .offset:         144
        .size:           8
        .value_kind:     hidden_global_offset_x
      - .offset:         152
        .size:           8
        .value_kind:     hidden_global_offset_y
      - .offset:         160
        .size:           8
        .value_kind:     hidden_global_offset_z
      - .offset:         168
        .size:           2
        .value_kind:     hidden_grid_dims
      - .offset:         224
        .size:           4
        .value_kind:     hidden_dynamic_lds_size
    .group_segment_fixed_size: 7872
    .kernarg_segment_align: 8
    .kernarg_segment_size: 360
    .language:       OpenCL C
    .language_version:
      - 2
      - 0
    .max_flat_workgroup_size: 1024
    .name:           _Z18sequence_aa_kernelbPKcS0_PKjS2_PsS3_S3_S3_S3_ssPKsS5_
    .private_segment_fixed_size: 0
    .sgpr_count:     36
    .sgpr_spill_count: 0
    .symbol:         _Z18sequence_aa_kernelbPKcS0_PKjS2_PsS3_S3_S3_S3_ssPKsS5_.kd
    .uniform_work_group_size: 1
    .uses_dynamic_stack: false
    .vgpr_count:     31
    .vgpr_spill_count: 0
    .wavefront_size: 32
    .workgroup_processor_mode: 1
amdhsa.target:   amdgcn-amd-amdhsa--gfx1100
amdhsa.version:
  - 1
  - 2
...

	.end_amdgpu_metadata
